;; amdgpu-corpus repo=ROCm/rocFFT kind=compiled arch=gfx1201 opt=O3
	.text
	.amdgcn_target "amdgcn-amd-amdhsa--gfx1201"
	.amdhsa_code_object_version 6
	.protected	fft_rtc_back_len1950_factors_13_5_10_3_wgs_195_tpt_195_half_ip_CI_unitstride_sbrr_dirReg ; -- Begin function fft_rtc_back_len1950_factors_13_5_10_3_wgs_195_tpt_195_half_ip_CI_unitstride_sbrr_dirReg
	.globl	fft_rtc_back_len1950_factors_13_5_10_3_wgs_195_tpt_195_half_ip_CI_unitstride_sbrr_dirReg
	.p2align	8
	.type	fft_rtc_back_len1950_factors_13_5_10_3_wgs_195_tpt_195_half_ip_CI_unitstride_sbrr_dirReg,@function
fft_rtc_back_len1950_factors_13_5_10_3_wgs_195_tpt_195_half_ip_CI_unitstride_sbrr_dirReg: ; @fft_rtc_back_len1950_factors_13_5_10_3_wgs_195_tpt_195_half_ip_CI_unitstride_sbrr_dirReg
; %bb.0:
	s_clause 0x2
	s_load_b128 s[4:7], s[0:1], 0x0
	s_load_b64 s[8:9], s[0:1], 0x50
	s_load_b64 s[10:11], s[0:1], 0x18
	v_mul_u32_u24_e32 v1, 0x151, v0
	v_mov_b32_e32 v3, 0
	s_delay_alu instid0(VALU_DEP_2) | instskip(NEXT) | instid1(VALU_DEP_1)
	v_lshrrev_b32_e32 v1, 16, v1
	v_add_nc_u32_e32 v5, ttmp9, v1
	v_mov_b32_e32 v1, 0
	v_mov_b32_e32 v2, 0
	;; [unrolled: 1-line block ×3, first 2 shown]
	s_wait_kmcnt 0x0
	v_cmp_lt_u64_e64 s2, s[6:7], 2
	s_delay_alu instid0(VALU_DEP_1)
	s_and_b32 vcc_lo, exec_lo, s2
	s_cbranch_vccnz .LBB0_8
; %bb.1:
	s_load_b64 s[2:3], s[0:1], 0x10
	v_mov_b32_e32 v1, 0
	v_mov_b32_e32 v2, 0
	s_add_nc_u64 s[12:13], s[10:11], 8
	s_mov_b64 s[14:15], 1
	s_wait_kmcnt 0x0
	s_add_nc_u64 s[16:17], s[2:3], 8
	s_mov_b32 s3, 0
.LBB0_2:                                ; =>This Inner Loop Header: Depth=1
	s_load_b64 s[18:19], s[16:17], 0x0
                                        ; implicit-def: $vgpr7_vgpr8
	s_mov_b32 s2, exec_lo
	s_wait_kmcnt 0x0
	v_or_b32_e32 v4, s19, v6
	s_delay_alu instid0(VALU_DEP_1)
	v_cmpx_ne_u64_e32 0, v[3:4]
	s_wait_alu 0xfffe
	s_xor_b32 s20, exec_lo, s2
	s_cbranch_execz .LBB0_4
; %bb.3:                                ;   in Loop: Header=BB0_2 Depth=1
	s_cvt_f32_u32 s2, s18
	s_cvt_f32_u32 s21, s19
	s_sub_nc_u64 s[24:25], 0, s[18:19]
	s_wait_alu 0xfffe
	s_delay_alu instid0(SALU_CYCLE_1) | instskip(SKIP_1) | instid1(SALU_CYCLE_2)
	s_fmamk_f32 s2, s21, 0x4f800000, s2
	s_wait_alu 0xfffe
	v_s_rcp_f32 s2, s2
	s_delay_alu instid0(TRANS32_DEP_1) | instskip(SKIP_1) | instid1(SALU_CYCLE_2)
	s_mul_f32 s2, s2, 0x5f7ffffc
	s_wait_alu 0xfffe
	s_mul_f32 s21, s2, 0x2f800000
	s_wait_alu 0xfffe
	s_delay_alu instid0(SALU_CYCLE_2) | instskip(SKIP_1) | instid1(SALU_CYCLE_2)
	s_trunc_f32 s21, s21
	s_wait_alu 0xfffe
	s_fmamk_f32 s2, s21, 0xcf800000, s2
	s_cvt_u32_f32 s23, s21
	s_wait_alu 0xfffe
	s_delay_alu instid0(SALU_CYCLE_1) | instskip(SKIP_1) | instid1(SALU_CYCLE_2)
	s_cvt_u32_f32 s22, s2
	s_wait_alu 0xfffe
	s_mul_u64 s[26:27], s[24:25], s[22:23]
	s_wait_alu 0xfffe
	s_mul_hi_u32 s29, s22, s27
	s_mul_i32 s28, s22, s27
	s_mul_hi_u32 s2, s22, s26
	s_mul_i32 s30, s23, s26
	s_wait_alu 0xfffe
	s_add_nc_u64 s[28:29], s[2:3], s[28:29]
	s_mul_hi_u32 s21, s23, s26
	s_mul_hi_u32 s31, s23, s27
	s_add_co_u32 s2, s28, s30
	s_wait_alu 0xfffe
	s_add_co_ci_u32 s2, s29, s21
	s_mul_i32 s26, s23, s27
	s_add_co_ci_u32 s27, s31, 0
	s_wait_alu 0xfffe
	s_add_nc_u64 s[26:27], s[2:3], s[26:27]
	s_wait_alu 0xfffe
	v_add_co_u32 v4, s2, s22, s26
	s_delay_alu instid0(VALU_DEP_1) | instskip(SKIP_1) | instid1(VALU_DEP_1)
	s_cmp_lg_u32 s2, 0
	s_add_co_ci_u32 s23, s23, s27
	v_readfirstlane_b32 s22, v4
	s_wait_alu 0xfffe
	s_delay_alu instid0(VALU_DEP_1)
	s_mul_u64 s[24:25], s[24:25], s[22:23]
	s_wait_alu 0xfffe
	s_mul_hi_u32 s27, s22, s25
	s_mul_i32 s26, s22, s25
	s_mul_hi_u32 s2, s22, s24
	s_mul_i32 s28, s23, s24
	s_wait_alu 0xfffe
	s_add_nc_u64 s[26:27], s[2:3], s[26:27]
	s_mul_hi_u32 s21, s23, s24
	s_mul_hi_u32 s22, s23, s25
	s_wait_alu 0xfffe
	s_add_co_u32 s2, s26, s28
	s_add_co_ci_u32 s2, s27, s21
	s_mul_i32 s24, s23, s25
	s_add_co_ci_u32 s25, s22, 0
	s_wait_alu 0xfffe
	s_add_nc_u64 s[24:25], s[2:3], s[24:25]
	s_wait_alu 0xfffe
	v_add_co_u32 v4, s2, v4, s24
	s_delay_alu instid0(VALU_DEP_1) | instskip(SKIP_1) | instid1(VALU_DEP_1)
	s_cmp_lg_u32 s2, 0
	s_add_co_ci_u32 s2, s23, s25
	v_mul_hi_u32 v13, v5, v4
	s_wait_alu 0xfffe
	v_mad_co_u64_u32 v[7:8], null, v5, s2, 0
	v_mad_co_u64_u32 v[9:10], null, v6, v4, 0
	;; [unrolled: 1-line block ×3, first 2 shown]
	s_delay_alu instid0(VALU_DEP_3) | instskip(SKIP_1) | instid1(VALU_DEP_4)
	v_add_co_u32 v4, vcc_lo, v13, v7
	s_wait_alu 0xfffd
	v_add_co_ci_u32_e32 v7, vcc_lo, 0, v8, vcc_lo
	s_delay_alu instid0(VALU_DEP_2) | instskip(SKIP_1) | instid1(VALU_DEP_2)
	v_add_co_u32 v4, vcc_lo, v4, v9
	s_wait_alu 0xfffd
	v_add_co_ci_u32_e32 v4, vcc_lo, v7, v10, vcc_lo
	s_wait_alu 0xfffd
	v_add_co_ci_u32_e32 v7, vcc_lo, 0, v12, vcc_lo
	s_delay_alu instid0(VALU_DEP_2) | instskip(SKIP_1) | instid1(VALU_DEP_2)
	v_add_co_u32 v4, vcc_lo, v4, v11
	s_wait_alu 0xfffd
	v_add_co_ci_u32_e32 v9, vcc_lo, 0, v7, vcc_lo
	s_delay_alu instid0(VALU_DEP_2) | instskip(SKIP_1) | instid1(VALU_DEP_3)
	v_mul_lo_u32 v10, s19, v4
	v_mad_co_u64_u32 v[7:8], null, s18, v4, 0
	v_mul_lo_u32 v11, s18, v9
	s_delay_alu instid0(VALU_DEP_2) | instskip(NEXT) | instid1(VALU_DEP_2)
	v_sub_co_u32 v7, vcc_lo, v5, v7
	v_add3_u32 v8, v8, v11, v10
	s_delay_alu instid0(VALU_DEP_1) | instskip(SKIP_1) | instid1(VALU_DEP_1)
	v_sub_nc_u32_e32 v10, v6, v8
	s_wait_alu 0xfffd
	v_subrev_co_ci_u32_e64 v10, s2, s19, v10, vcc_lo
	v_add_co_u32 v11, s2, v4, 2
	s_wait_alu 0xf1ff
	v_add_co_ci_u32_e64 v12, s2, 0, v9, s2
	v_sub_co_u32 v13, s2, v7, s18
	v_sub_co_ci_u32_e32 v8, vcc_lo, v6, v8, vcc_lo
	s_wait_alu 0xf1ff
	v_subrev_co_ci_u32_e64 v10, s2, 0, v10, s2
	s_delay_alu instid0(VALU_DEP_3) | instskip(NEXT) | instid1(VALU_DEP_3)
	v_cmp_le_u32_e32 vcc_lo, s18, v13
	v_cmp_eq_u32_e64 s2, s19, v8
	s_wait_alu 0xfffd
	v_cndmask_b32_e64 v13, 0, -1, vcc_lo
	v_cmp_le_u32_e32 vcc_lo, s19, v10
	s_wait_alu 0xfffd
	v_cndmask_b32_e64 v14, 0, -1, vcc_lo
	v_cmp_le_u32_e32 vcc_lo, s18, v7
	;; [unrolled: 3-line block ×3, first 2 shown]
	s_wait_alu 0xfffd
	v_cndmask_b32_e64 v15, 0, -1, vcc_lo
	v_cmp_eq_u32_e32 vcc_lo, s19, v10
	s_wait_alu 0xf1ff
	s_delay_alu instid0(VALU_DEP_2)
	v_cndmask_b32_e64 v7, v15, v7, s2
	s_wait_alu 0xfffd
	v_cndmask_b32_e32 v10, v14, v13, vcc_lo
	v_add_co_u32 v13, vcc_lo, v4, 1
	s_wait_alu 0xfffd
	v_add_co_ci_u32_e32 v14, vcc_lo, 0, v9, vcc_lo
	s_delay_alu instid0(VALU_DEP_3) | instskip(SKIP_2) | instid1(VALU_DEP_3)
	v_cmp_ne_u32_e32 vcc_lo, 0, v10
	s_wait_alu 0xfffd
	v_cndmask_b32_e32 v10, v13, v11, vcc_lo
	v_cndmask_b32_e32 v8, v14, v12, vcc_lo
	v_cmp_ne_u32_e32 vcc_lo, 0, v7
	s_wait_alu 0xfffd
	s_delay_alu instid0(VALU_DEP_2)
	v_dual_cndmask_b32 v7, v4, v10 :: v_dual_cndmask_b32 v8, v9, v8
.LBB0_4:                                ;   in Loop: Header=BB0_2 Depth=1
	s_wait_alu 0xfffe
	s_and_not1_saveexec_b32 s2, s20
	s_cbranch_execz .LBB0_6
; %bb.5:                                ;   in Loop: Header=BB0_2 Depth=1
	v_cvt_f32_u32_e32 v4, s18
	s_sub_co_i32 s20, 0, s18
	s_delay_alu instid0(VALU_DEP_1) | instskip(NEXT) | instid1(TRANS32_DEP_1)
	v_rcp_iflag_f32_e32 v4, v4
	v_mul_f32_e32 v4, 0x4f7ffffe, v4
	s_delay_alu instid0(VALU_DEP_1) | instskip(SKIP_1) | instid1(VALU_DEP_1)
	v_cvt_u32_f32_e32 v4, v4
	s_wait_alu 0xfffe
	v_mul_lo_u32 v7, s20, v4
	s_delay_alu instid0(VALU_DEP_1) | instskip(NEXT) | instid1(VALU_DEP_1)
	v_mul_hi_u32 v7, v4, v7
	v_add_nc_u32_e32 v4, v4, v7
	s_delay_alu instid0(VALU_DEP_1) | instskip(NEXT) | instid1(VALU_DEP_1)
	v_mul_hi_u32 v4, v5, v4
	v_mul_lo_u32 v7, v4, s18
	v_add_nc_u32_e32 v8, 1, v4
	s_delay_alu instid0(VALU_DEP_2) | instskip(NEXT) | instid1(VALU_DEP_1)
	v_sub_nc_u32_e32 v7, v5, v7
	v_subrev_nc_u32_e32 v9, s18, v7
	v_cmp_le_u32_e32 vcc_lo, s18, v7
	s_wait_alu 0xfffd
	s_delay_alu instid0(VALU_DEP_2) | instskip(NEXT) | instid1(VALU_DEP_1)
	v_dual_cndmask_b32 v7, v7, v9 :: v_dual_cndmask_b32 v4, v4, v8
	v_cmp_le_u32_e32 vcc_lo, s18, v7
	s_delay_alu instid0(VALU_DEP_2) | instskip(SKIP_1) | instid1(VALU_DEP_1)
	v_add_nc_u32_e32 v8, 1, v4
	s_wait_alu 0xfffd
	v_dual_cndmask_b32 v7, v4, v8 :: v_dual_mov_b32 v8, v3
.LBB0_6:                                ;   in Loop: Header=BB0_2 Depth=1
	s_wait_alu 0xfffe
	s_or_b32 exec_lo, exec_lo, s2
	s_load_b64 s[20:21], s[12:13], 0x0
	s_delay_alu instid0(VALU_DEP_1)
	v_mul_lo_u32 v4, v8, s18
	v_mul_lo_u32 v11, v7, s19
	v_mad_co_u64_u32 v[9:10], null, v7, s18, 0
	s_add_nc_u64 s[14:15], s[14:15], 1
	s_add_nc_u64 s[12:13], s[12:13], 8
	s_wait_alu 0xfffe
	v_cmp_ge_u64_e64 s2, s[14:15], s[6:7]
	s_add_nc_u64 s[16:17], s[16:17], 8
	s_delay_alu instid0(VALU_DEP_2) | instskip(NEXT) | instid1(VALU_DEP_3)
	v_add3_u32 v4, v10, v11, v4
	v_sub_co_u32 v5, vcc_lo, v5, v9
	s_wait_alu 0xfffd
	s_delay_alu instid0(VALU_DEP_2) | instskip(SKIP_3) | instid1(VALU_DEP_2)
	v_sub_co_ci_u32_e32 v4, vcc_lo, v6, v4, vcc_lo
	s_and_b32 vcc_lo, exec_lo, s2
	s_wait_kmcnt 0x0
	v_mul_lo_u32 v6, s21, v5
	v_mul_lo_u32 v4, s20, v4
	v_mad_co_u64_u32 v[1:2], null, s20, v5, v[1:2]
	s_delay_alu instid0(VALU_DEP_1)
	v_add3_u32 v2, v6, v2, v4
	s_wait_alu 0xfffe
	s_cbranch_vccnz .LBB0_9
; %bb.7:                                ;   in Loop: Header=BB0_2 Depth=1
	v_dual_mov_b32 v5, v7 :: v_dual_mov_b32 v6, v8
	s_branch .LBB0_2
.LBB0_8:
	v_dual_mov_b32 v8, v6 :: v_dual_mov_b32 v7, v5
.LBB0_9:
	s_lshl_b64 s[2:3], s[6:7], 3
	v_mul_hi_u32 v3, 0x1501502, v0
	s_wait_alu 0xfffe
	s_add_nc_u64 s[2:3], s[10:11], s[2:3]
                                        ; implicit-def: $vgpr24
                                        ; implicit-def: $vgpr21
                                        ; implicit-def: $vgpr19
                                        ; implicit-def: $vgpr6
                                        ; implicit-def: $vgpr18
                                        ; implicit-def: $vgpr17
                                        ; implicit-def: $vgpr9
                                        ; implicit-def: $vgpr16
                                        ; implicit-def: $vgpr11
	s_load_b64 s[2:3], s[2:3], 0x0
	s_load_b64 s[0:1], s[0:1], 0x20
	s_delay_alu instid0(VALU_DEP_1) | instskip(NEXT) | instid1(VALU_DEP_1)
	v_mul_u32_u24_e32 v3, 0xc3, v3
	v_sub_nc_u32_e32 v0, v0, v3
	s_wait_kmcnt 0x0
	v_mul_lo_u32 v4, s2, v8
	v_mul_lo_u32 v5, s3, v7
	v_mad_co_u64_u32 v[1:2], null, s2, v7, v[1:2]
	v_cmp_gt_u64_e32 vcc_lo, s[0:1], v[7:8]
	v_cmp_gt_u32_e64 s0, 0x96, v0
                                        ; implicit-def: $vgpr7
	s_delay_alu instid0(VALU_DEP_1) | instskip(NEXT) | instid1(VALU_DEP_3)
	s_and_b32 s1, vcc_lo, s0
	v_add3_u32 v2, v5, v2, v4
                                        ; implicit-def: $vgpr4
                                        ; implicit-def: $vgpr5
	s_delay_alu instid0(VALU_DEP_1)
	v_lshlrev_b64_e32 v[2:3], 2, v[1:2]
	v_mov_b32_e32 v1, 0
	s_wait_alu 0xfffe
	s_and_saveexec_b32 s2, s1
; %bb.10:
	v_mov_b32_e32 v1, 0
	s_delay_alu instid0(VALU_DEP_1) | instskip(SKIP_3) | instid1(VALU_DEP_2)
	v_lshlrev_b64_e32 v[4:5], 2, v[0:1]
	v_add_co_u32 v1, s1, s8, v2
	s_wait_alu 0xf1ff
	v_add_co_ci_u32_e64 v6, s1, s9, v3, s1
	v_add_co_u32 v12, s1, v1, v4
	s_wait_alu 0xf1ff
	s_delay_alu instid0(VALU_DEP_2)
	v_add_co_ci_u32_e64 v13, s1, v6, v5, s1
	s_clause 0xc
	global_load_b32 v1, v[12:13], off
	global_load_b32 v24, v[12:13], off offset:600
	global_load_b32 v21, v[12:13], off offset:1200
	;; [unrolled: 1-line block ×12, first 2 shown]
; %bb.11:
	s_wait_alu 0xfffe
	s_or_b32 exec_lo, exec_lo, s2
	s_wait_loadcnt 0x0
	v_pk_add_f16 v40, v24, v4 neg_lo:[0,1] neg_hi:[0,1]
	v_pk_add_f16 v39, v21, v5 neg_lo:[0,1] neg_hi:[0,1]
	v_pk_add_f16 v8, v24, v4
	v_pk_add_f16 v10, v21, v5
	v_pk_add_f16 v41, v19, v6 neg_lo:[0,1] neg_hi:[0,1]
	v_lshrrev_b32_e32 v45, 16, v40
	v_lshrrev_b32_e32 v46, 16, v39
	;; [unrolled: 1-line block ×3, first 2 shown]
	v_mul_f16_e32 v58, 0xba95, v40
	v_lshrrev_b32_e32 v26, 16, v1
	v_mul_f16_e32 v55, 0xba95, v45
	v_mul_f16_e32 v63, 0xbbf1, v45
	v_mul_f16_e32 v56, 0xbb7b, v46
	v_mul_f16_e32 v57, 0xbbf1, v40
	v_lshrrev_b32_e32 v27, 16, v10
	v_fma_f16 v13, v8, 0x388b, -v55
	v_fmamk_f16 v12, v30, 0x388b, v58
	v_fma_f16 v14, v8, 0x2fb7, -v63
	v_fma_f16 v20, v10, 0xb5ac, -v56
	v_mul_f16_e32 v61, 0xbb7b, v39
	v_add_f16_e32 v13, v1, v13
	v_mul_f16_e32 v70, 0xb3a8, v46
	v_lshrrev_b32_e32 v47, 16, v41
	v_fmamk_f16 v15, v30, 0x2fb7, v57
	v_add_f16_e32 v12, v26, v12
	v_add_f16_e32 v14, v1, v14
	;; [unrolled: 1-line block ×3, first 2 shown]
	v_fmamk_f16 v22, v27, 0xb5ac, v61
	v_fma_f16 v23, v10, 0xbbc4, -v70
	v_mul_f16_e32 v68, 0xb3a8, v39
	v_pk_add_f16 v20, v19, v6
	v_mul_f16_e32 v59, 0xb3a8, v47
	v_pk_add_f16 v42, v18, v7 neg_lo:[0,1] neg_hi:[0,1]
	v_add_f16_e32 v15, v26, v15
	v_add_f16_e32 v12, v12, v22
	;; [unrolled: 1-line block ×3, first 2 shown]
	v_fmamk_f16 v22, v27, 0xbbc4, v68
	v_lshrrev_b32_e32 v28, 16, v20
	v_fma_f16 v23, v20, 0xbbc4, -v59
	v_mul_f16_e32 v67, 0xb3a8, v41
	v_mul_f16_e32 v69, 0x3b7b, v47
	v_lshrrev_b32_e32 v49, 16, v42
	v_add_f16_e32 v15, v15, v22
	v_add_f16_e32 v13, v13, v23
	v_fmamk_f16 v23, v28, 0xbbc4, v67
	v_fma_f16 v25, v20, 0xb5ac, -v69
	v_mul_f16_e32 v75, 0x3b7b, v41
	v_pk_add_f16 v22, v18, v7
	v_mul_f16_e32 v62, 0x394e, v49
	v_pk_add_f16 v43, v17, v9 neg_lo:[0,1] neg_hi:[0,1]
	v_add_f16_e32 v12, v12, v23
	v_add_f16_e32 v14, v14, v25
	v_fmamk_f16 v23, v28, 0xb5ac, v75
	v_lshrrev_b32_e32 v29, 16, v22
	v_fma_f16 v25, v22, 0xb9fd, -v62
	v_mul_f16_e32 v71, 0x394e, v42
	v_mul_f16_e32 v73, 0x3770, v49
	v_lshrrev_b32_e32 v50, 16, v43
	v_add_f16_e32 v15, v15, v23
	v_add_f16_e32 v13, v13, v25
	v_fmamk_f16 v25, v29, 0xb9fd, v71
	v_fma_f16 v31, v22, 0x3b15, -v73
	v_mul_f16_e32 v77, 0x3770, v42
	v_pk_add_f16 v23, v17, v9
	v_mul_f16_e32 v64, 0x3bf1, v50
	v_add_f16_e32 v12, v12, v25
	v_add_f16_e32 v14, v14, v31
	v_fmamk_f16 v25, v29, 0x3b15, v77
	v_lshrrev_b32_e32 v31, 16, v23
	v_fma_f16 v32, v23, 0x2fb7, -v64
	v_mul_f16_e32 v74, 0x3bf1, v43
	v_pk_add_f16 v44, v16, v11 neg_lo:[0,1] neg_hi:[0,1]
	v_mul_f16_e32 v76, 0xba95, v50
	v_add_f16_e32 v15, v15, v25
	v_add_f16_e32 v13, v13, v32
	v_fmamk_f16 v32, v31, 0x2fb7, v74
	v_mul_f16_e32 v79, 0xba95, v43
	v_lshrrev_b32_e32 v54, 16, v44
	v_pk_add_f16 v25, v16, v11
	v_fma_f16 v33, v23, 0x388b, -v76
	v_add_f16_e32 v32, v12, v32
	v_fmamk_f16 v12, v31, 0x388b, v79
	v_mul_f16_e32 v65, 0x3770, v54
	v_lshrrev_b32_e32 v36, 16, v25
	v_mul_f16_e32 v72, 0x3770, v44
	v_mul_f16_e32 v78, 0xb94e, v54
	;; [unrolled: 1-line block ×3, first 2 shown]
	v_add_f16_e32 v14, v14, v33
	v_add_f16_e32 v15, v15, v12
	v_fma_f16 v12, v25, 0x3b15, -v65
	v_fmamk_f16 v33, v36, 0x3b15, v72
	v_fma_f16 v34, v25, 0xb9fd, -v78
	v_fmamk_f16 v35, v36, 0xb9fd, v66
	s_delay_alu instid0(VALU_DEP_4) | instskip(NEXT) | instid1(VALU_DEP_4)
	v_add_f16_e32 v12, v13, v12
	v_add_f16_e32 v13, v32, v33
	s_delay_alu instid0(VALU_DEP_4) | instskip(NEXT) | instid1(VALU_DEP_4)
	v_add_f16_e32 v14, v14, v34
	v_add_f16_e32 v15, v15, v35
	s_and_saveexec_b32 s1, s0
	s_cbranch_execz .LBB0_13
; %bb.12:
	v_pk_mul_f16 v38, 0xb3a8, v40 op_sel_hi:[0,1]
	v_pk_mul_f16 v32, 0xbbc4, v8 op_sel_hi:[0,1]
	;; [unrolled: 1-line block ×5, first 2 shown]
	v_lshrrev_b32_e32 v51, 16, v38
	v_pk_mul_f16 v48, 0xb9fd, v20 op_sel_hi:[0,1]
	v_lshrrev_b32_e32 v53, 16, v37
	v_pk_mul_f16 v34, 0x3a95, v42 op_sel_hi:[0,1]
	v_lshrrev_b32_e32 v80, 16, v35
	v_add_f16_e32 v51, v51, v32
	v_pk_mul_f16 v52, 0x388b, v22 op_sel_hi:[0,1]
	v_add_f16_e32 v53, v53, v33
	v_lshrrev_b32_e32 v82, 16, v34
	v_add_f16_e32 v48, v80, v48
	v_add_f16_e32 v51, v1, v51
	v_pk_mul_f16 v32, 0xbb7b, v43 op_sel_hi:[0,1]
	v_mul_f16_e32 v80, 0xb94e, v40
	v_add_f16_e32 v52, v82, v52
	v_mul_f16_e32 v82, 0xb9fd, v8
	v_add_f16_e32 v51, v51, v53
	v_pk_mul_f16 v60, 0xb5ac, v23 op_sel_hi:[0,1]
	v_lshrrev_b32_e32 v53, 16, v32
	v_fma_f16 v84, v30, 0xb9fd, -v80
	v_mul_f16_e32 v85, 0x2fb7, v10
	v_add_f16_e32 v48, v51, v48
	v_pk_mul_f16 v33, 0x3bf1, v44 op_sel_hi:[0,1]
	v_add_f16_e32 v53, v53, v60
	v_add_f16_e32 v60, v26, v84
	v_fmamk_f16 v84, v46, 0x3bf1, v85
	v_add_f16_e32 v48, v48, v52
	v_fmamk_f16 v52, v45, 0xb94e, v82
	v_pk_mul_f16 v81, 0x2fb7, v25 op_sel_hi:[0,1]
	v_mul_f16_e32 v83, 0x3bf1, v39
	v_lshrrev_b32_e32 v51, 16, v33
	v_add_f16_e32 v48, v48, v53
	v_add_f16_e32 v52, v1, v52
	v_mul_f16_e32 v86, 0x388b, v20
	v_fma_f16 v53, v27, 0x2fb7, -v83
	v_add_f16_e32 v51, v51, v81
	v_mul_f16_e32 v81, 0xba95, v41
	v_add_f16_e32 v52, v52, v84
	v_mul_f16_e32 v84, 0xbb7b, v40
	v_mul_f16_e32 v91, 0x394e, v39
	v_add_f16_e32 v53, v60, v53
	v_fma_f16 v60, v28, 0x388b, -v81
	v_mul_f16_e32 v87, 0x33a8, v42
	v_fma_f16 v90, v30, 0xb5ac, -v84
	v_fmamk_f16 v88, v47, 0xba95, v86
	v_mul_f16_e32 v89, 0xbbc4, v22
	v_fma_f16 v93, v27, 0xb9fd, -v91
	v_mul_f16_e32 v94, 0x3770, v41
	v_add_f16_e32 v90, v26, v90
	v_add_f16_e32 v53, v53, v60
	v_fma_f16 v60, v29, 0xbbc4, -v87
	v_mul_f16_e32 v92, 0x3770, v43
	v_add_f16_e32 v52, v52, v88
	v_fmamk_f16 v88, v49, 0x33a8, v89
	v_mul_f16_e32 v95, 0x3b15, v23
	v_add_f16_e32 v90, v90, v93
	v_fma_f16 v93, v28, 0x3b15, -v94
	v_mul_f16_e32 v96, 0xbbf1, v42
	v_add_f16_e32 v53, v53, v60
	v_fma_f16 v60, v31, 0x3b15, -v92
	v_mul_f16_e32 v97, 0xbb7b, v44
	v_add_f16_e32 v52, v52, v88
	v_fmamk_f16 v88, v50, 0x3770, v95
	v_add_f16_e32 v90, v90, v93
	v_fma_f16 v93, v29, 0x2fb7, -v96
	v_mul_f16_e32 v98, 0x33a8, v43
	v_mul_f16_e32 v99, 0xb5ac, v25
	v_add_f16_e32 v48, v48, v51
	v_add_f16_e32 v51, v53, v60
	;; [unrolled: 1-line block ×3, first 2 shown]
	v_fma_f16 v60, v31, 0xbbc4, -v98
	v_mul_f16_e32 v90, 0x3a95, v44
	v_fma_f16 v93, v36, 0xb5ac, -v97
	v_add_f16_e32 v52, v52, v88
	v_fmamk_f16 v88, v54, 0xbb7b, v99
	v_add_f16_e32 v60, v53, v60
	v_fma_f16 v100, v36, 0x388b, -v90
	v_add_f16_e32 v51, v51, v93
	v_mul_f16_e32 v93, 0x2fb7, v30
	v_mul_f16_e32 v101, 0x2fb7, v8
	v_add_f16_e32 v53, v52, v88
	v_mul_f16_e32 v88, 0xbbc4, v10
	v_add_f16_e32 v52, v60, v100
	v_sub_f16_e32 v60, v93, v57
	v_add_f16_e32 v57, v63, v101
	v_mul_f16_e32 v63, 0xbbc4, v27
	v_mul_f16_e32 v93, 0xb5ac, v28
	v_add_f16_e32 v70, v70, v88
	v_mul_f16_e32 v88, 0x388b, v30
	v_add_f16_e32 v100, v1, v57
	v_sub_f16_e32 v63, v63, v68
	v_sub_f16_e32 v57, v93, v75
	v_mul_f16_e32 v68, 0xb5ac, v27
	v_sub_f16_e32 v58, v88, v58
	v_mul_f16_e32 v75, 0xb5ac, v20
	v_add_f16_e32 v70, v100, v70
	v_mul_f16_e32 v93, 0xbbc4, v28
	v_sub_f16_e32 v61, v68, v61
	v_add_f16_e32 v68, v26, v58
	v_add_f16_e32 v69, v69, v75
	v_mul_f16_e32 v75, 0x3b15, v22
	v_sub_f16_e32 v67, v93, v67
	v_mul_f16_e32 v88, 0x3b15, v29
	v_add_f16_e32 v61, v68, v61
	v_add_f16_e32 v68, v70, v69
	v_mul_f16_e32 v69, 0xb9fd, v29
	v_add_f16_e32 v73, v73, v75
	v_mul_f16_e32 v75, 0x388b, v23
	;; [unrolled: 2-line block ×3, first 2 shown]
	v_sub_f16_e32 v69, v69, v71
	v_add_f16_e32 v68, v68, v73
	v_add_f16_e32 v71, v76, v75
	v_mul_f16_e32 v75, 0xb770, v45
	v_sub_f16_e32 v58, v88, v77
	v_add_f16_e32 v67, v67, v69
	v_mul_f16_e32 v69, 0xb9fd, v25
	v_sub_f16_e32 v61, v70, v79
	v_mul_f16_e32 v70, 0x2fb7, v31
	v_add_f16_e32 v68, v68, v71
	v_fmamk_f16 v76, v8, 0x3b15, v75
	v_add_f16_e32 v69, v78, v69
	v_mul_f16_e32 v77, 0xba95, v46
	v_sub_f16_e32 v70, v70, v74
	v_mul_f16_e32 v78, 0xbbf1, v47
	v_fmac_f16_e32 v80, 0xb9fd, v30
	v_add_f16_e32 v68, v68, v69
	v_add_f16_e32 v69, v1, v76
	v_fmamk_f16 v76, v10, 0x388b, v77
	v_mul_f16_e32 v73, 0x388b, v8
	v_mul_f16_e32 v71, 0x3b15, v36
	v_add_f16_e32 v67, v67, v70
	v_mul_f16_e32 v70, 0xb5ac, v10
	v_add_f16_e32 v69, v69, v76
	v_fmamk_f16 v76, v20, 0x2fb7, v78
	v_mul_f16_e32 v79, 0xbb7b, v49
	v_add_f16_e32 v80, v26, v80
	v_fmac_f16_e32 v83, 0x2fb7, v27
	v_sub_f16_e32 v71, v71, v72
	v_mul_f16_e32 v72, 0xbbc4, v20
	v_add_f16_e32 v55, v55, v73
	v_add_f16_e32 v56, v56, v70
	;; [unrolled: 1-line block ×3, first 2 shown]
	v_fmamk_f16 v70, v22, 0xb5ac, v79
	v_add_f16_e32 v73, v80, v83
	v_mul_f16_e32 v76, 0xb94e, v50
	v_fmac_f16_e32 v81, 0x388b, v28
	v_add_f16_e32 v67, v67, v71
	v_mul_f16_e32 v71, 0x2fb7, v23
	v_add_f16_e32 v59, v59, v72
	v_mul_f16_e32 v72, 0x3b15, v25
	v_add_f16_e32 v69, v69, v70
	v_fmamk_f16 v70, v23, 0xb9fd, v76
	v_add_f16_e32 v73, v73, v81
	v_mul_f16_e32 v80, 0xb3a8, v54
	v_fmac_f16_e32 v87, 0xbbc4, v29
	v_mul_f16_e32 v74, 0xb9fd, v36
	v_add_f16_e32 v64, v64, v71
	v_add_f16_e32 v69, v69, v70
	v_fmamk_f16 v70, v25, 0xbbc4, v80
	v_add_f16_e32 v71, v73, v87
	v_mul_f16_e32 v73, 0xb94e, v45
	v_add_f16_e32 v65, v65, v72
	v_mul_f16_e32 v72, 0x3bf1, v46
	v_sub_f16_e32 v66, v74, v66
	v_mul_f16_e32 v74, 0xb9fd, v22
	v_add_f16_e32 v69, v69, v70
	v_pack_b32_f16 v70, v73, v38
	v_pack_b32_f16 v72, v72, v37
	v_mul_f16_e32 v73, 0xba95, v47
	v_add_f16_e32 v62, v62, v74
	v_pk_fma_f16 v74, 0xbbc4, v8, v38 op_sel:[0,0,1] op_sel_hi:[0,1,0]
	v_pk_add_f16 v70, v82, v70 neg_lo:[0,1] neg_hi:[0,1]
	v_pk_add_f16 v72, v85, v72 neg_lo:[0,1] neg_hi:[0,1]
	v_pk_fma_f16 v81, 0x3b15, v10, v37 op_sel:[0,0,1] op_sel_hi:[0,1,0]
	v_mul_f16_e32 v82, 0x33a8, v49
	v_pack_b32_f16 v73, v73, v35
	v_bfi_b32 v70, 0xffff, v70, v74
	v_mul_f16_e32 v74, 0x3770, v50
	v_bfi_b32 v72, 0xffff, v72, v81
	v_pack_b32_f16 v81, v82, v34
	v_pk_add_f16 v73, v86, v73 neg_lo:[0,1] neg_hi:[0,1]
	v_pk_fma_f16 v83, 0xb9fd, v20, v35 op_sel:[0,0,1] op_sel_hi:[0,1,0]
	v_mul_f16_e32 v45, 0xbb7b, v45
	v_pk_add_f16 v24, v1, v24
	v_pk_add_f16 v81, v89, v81 neg_lo:[0,1] neg_hi:[0,1]
	v_pk_fma_f16 v85, 0x388b, v22, v34 op_sel:[0,0,1] op_sel_hi:[0,1,0]
	v_mul_f16_e32 v46, 0x394e, v46
	v_bfi_b32 v73, 0xffff, v73, v83
	v_pack_b32_f16 v74, v74, v32
	v_fmamk_f16 v83, v8, 0xb5ac, v45
	v_fma_f16 v45, v8, 0xb5ac, -v45
	v_pk_add_f16 v21, v24, v21
	v_bfi_b32 v81, 0xffff, v81, v85
	v_fmamk_f16 v85, v10, 0xb9fd, v46
	v_pk_add_f16 v74, v95, v74 neg_lo:[0,1] neg_hi:[0,1]
	v_pk_fma_f16 v86, 0xb5ac, v23, v32 op_sel:[0,0,1] op_sel_hi:[0,1,0]
	v_mul_f16_e32 v47, 0x3770, v47
	v_add_f16_e32 v45, v1, v45
	v_fma_f16 v46, v10, 0xb9fd, -v46
	v_pk_add_f16 v19, v21, v19
	v_mul_f16_e32 v49, 0xbbf1, v49
	v_bfi_b32 v74, 0xffff, v74, v86
	v_fmamk_f16 v86, v20, 0x3b15, v47
	v_add_f16_e32 v45, v45, v46
	v_fma_f16 v47, v20, 0x3b15, -v47
	v_fmac_f16_e32 v84, 0xb5ac, v30
	v_pk_add_f16 v18, v19, v18
	v_fmac_f16_e32 v92, 0x3b15, v31
	v_fmamk_f16 v87, v22, 0x2fb7, v49
	v_mul_f16_e32 v50, 0x33a8, v50
	v_mul_f16_e32 v39, 0xba95, v39
	;; [unrolled: 1-line block ×3, first 2 shown]
	v_add_f16_e32 v45, v45, v47
	v_fma_f16 v49, v22, 0x2fb7, -v49
	v_add_f16_e32 v84, v26, v84
	v_fmac_f16_e32 v91, 0xb9fd, v27
	v_mul_f16_e32 v40, 0xb770, v40
	v_pk_add_f16 v17, v18, v17
	v_add_f16_e32 v71, v71, v92
	v_fmac_f16_e32 v94, 0x3b15, v28
	v_fma_f16 v92, v27, 0x388b, -v39
	v_fma_f16 v46, v28, 0x2fb7, -v41
	v_fmac_f16_e32 v39, 0x388b, v27
	v_add_f16_e32 v24, v45, v49
	v_fma_f16 v27, v23, 0xbbc4, -v50
	v_fmac_f16_e32 v41, 0x2fb7, v28
	v_fma_f16 v28, v8, 0x3b15, -v75
	v_add_f16_e32 v84, v84, v91
	v_fma_f16 v91, v30, 0x3b15, -v40
	v_pk_add_f16 v16, v17, v16
	v_add_f16_e32 v19, v24, v27
	v_add_f16_e32 v24, v1, v28
	v_fma_f16 v18, v10, 0x388b, -v77
	v_mul_f16_e32 v42, 0xbb7b, v42
	v_pk_add_f16 v11, v16, v11
	v_pack_b32_f16 v16, v55, v91
	v_fmac_f16_e32 v40, 0x3b15, v30
	v_add_f16_e32 v17, v24, v18
	v_fma_f16 v18, v20, 0x2fb7, -v78
	v_pk_add_f16 v9, v9, v11
	v_pk_add_f16 v11, v1, v16
	v_pack_b32_f16 v16, v56, v92
	v_fma_f16 v30, v29, 0xb5ac, -v42
	v_add_f16_e32 v17, v17, v18
	v_fma_f16 v18, v22, 0xb5ac, -v79
	v_pk_add_f16 v7, v7, v9
	v_pk_add_f16 v9, v11, v16
	v_pack_b32_f16 v11, v59, v46
	v_mul_f16_e32 v43, 0xb94e, v43
	v_add_f16_e32 v17, v17, v18
	v_fma_f16 v18, v23, 0xb9fd, -v76
	v_pk_add_f16 v6, v6, v7
	v_pk_add_f16 v7, v9, v11
	v_pack_b32_f16 v9, v62, v30
	v_mul_f16_e32 v82, 0xbb7b, v54
	v_add_f16_e32 v16, v17, v18
	v_fma_f16 v17, v25, 0xbbc4, -v80
	v_pack_b32_f16 v18, v83, v60
	v_pk_add_f16 v5, v5, v6
	v_pk_add_f16 v6, v7, v9
	v_pk_fma_f16 v7, 0xbbc4, v8, v38 op_sel:[0,0,1] op_sel_hi:[0,1,0] neg_lo:[0,0,1] neg_hi:[0,0,1]
	v_fma_f16 v47, v31, 0xb9fd, -v43
	v_add_f16_e32 v11, v16, v17
	v_pk_add_f16 v16, v1, v18
	v_pack_b32_f16 v17, v85, v63
	v_pk_add_f16 v4, v4, v5
	v_pk_add_f16 v5, v1, v7
	v_pk_fma_f16 v7, 0x3b15, v10, v37 op_sel:[0,0,1] op_sel_hi:[0,1,0] neg_lo:[0,0,1] neg_hi:[0,0,1]
	v_pk_add_f16 v1, v1, v70
	v_pack_b32_f16 v82, v82, v33
	v_pack_b32_f16 v8, v64, v47
	v_pk_add_f16 v9, v16, v17
	v_pack_b32_f16 v16, v86, v57
	v_mul_f16_e32 v44, 0xb3a8, v44
	v_pk_add_f16 v5, v5, v7
	v_pk_fma_f16 v7, 0xb9fd, v20, v35 op_sel:[0,0,1] op_sel_hi:[0,1,0] neg_lo:[0,0,1] neg_hi:[0,0,1]
	v_pk_add_f16 v1, v1, v72
	v_add_f16_e32 v26, v26, v40
	v_mul_f16_e32 v54, 0x3a95, v54
	v_pk_add_f16 v82, v99, v82 neg_lo:[0,1] neg_hi:[0,1]
	v_pk_fma_f16 v88, 0x2fb7, v25, v33 op_sel:[0,0,1] op_sel_hi:[0,1,0]
	v_fmamk_f16 v89, v23, 0xbbc4, v50
	v_pk_add_f16 v6, v6, v8
	v_pk_add_f16 v8, v9, v16
	v_pack_b32_f16 v9, v87, v58
	v_add_f16_e32 v84, v84, v94
	v_fmac_f16_e32 v96, 0x2fb7, v29
	v_fma_f16 v40, v36, 0xbbc4, -v44
	v_pk_add_f16 v5, v5, v7
	v_pk_fma_f16 v7, 0x388b, v22, v34 op_sel:[0,0,1] op_sel_hi:[0,1,0] neg_lo:[0,0,1] neg_hi:[0,0,1]
	v_pk_add_f16 v1, v1, v73
	v_add_f16_e32 v21, v26, v39
	v_bfi_b32 v82, 0xffff, v82, v88
	v_fmamk_f16 v88, v25, 0x388b, v54
	v_pk_add_f16 v8, v8, v9
	v_pack_b32_f16 v9, v89, v61
	v_add_f16_e32 v84, v84, v96
	v_fmac_f16_e32 v98, 0xbbc4, v31
	v_pack_b32_f16 v10, v65, v40
	v_pk_add_f16 v5, v5, v7
	v_pk_add_f16 v1, v1, v81
	v_pk_fma_f16 v7, 0xb5ac, v23, v32 op_sel:[0,0,1] op_sel_hi:[0,1,0] neg_lo:[0,0,1] neg_hi:[0,0,1]
	v_add_f16_e32 v21, v21, v41
	v_fmac_f16_e32 v42, 0xb5ac, v29
	v_pk_add_f16 v8, v8, v9
	v_pack_b32_f16 v9, v88, v66
	v_fmac_f16_e32 v97, 0xb5ac, v36
	v_add_f16_e32 v84, v84, v98
	v_fmac_f16_e32 v90, 0x388b, v36
	v_fma_f16 v27, v25, 0x388b, -v54
	v_pk_add_f16 v6, v6, v10
	v_pk_add_f16 v1, v1, v74
	;; [unrolled: 1-line block ×3, first 2 shown]
	v_pk_fma_f16 v7, 0x2fb7, v25, v33 op_sel:[0,0,1] op_sel_hi:[0,1,0] neg_lo:[0,0,1] neg_hi:[0,0,1]
	v_add_f16_e32 v21, v21, v42
	v_fmac_f16_e32 v43, 0xb9fd, v31
	v_pk_add_f16 v8, v8, v9
	v_add_f16_e32 v71, v71, v97
	v_add_f16_e32 v26, v84, v90
	;; [unrolled: 1-line block ×3, first 2 shown]
	v_mad_u32_u24 v10, v0, 52, 0
	v_bfi_b32 v16, 0xffff, v69, v6
	v_pack_b32_f16 v17, v6, v67
	v_pack_b32_f16 v6, v53, v51
	v_pk_add_f16 v1, v1, v82
	v_pk_add_f16 v7, v5, v7
	v_add_f16_e32 v21, v21, v43
	v_fmac_f16_e32 v44, 0xbbc4, v36
	v_bfi_b32 v18, 0xffff, v68, v8
	v_pack_b32_f16 v20, v8, v52
	ds_store_2addr_b32 v10, v4, v6 offset1:5
	v_alignbit_b32 v5, v1, v1, 16
	v_pack_b32_f16 v6, v71, v19
	v_alignbit_b32 v4, v7, v7, 16
	v_perm_b32 v7, v14, v26, 0x5040100
	v_perm_b32 v8, v12, v15, 0x5040100
	;; [unrolled: 1-line block ×3, first 2 shown]
	v_add_f16_e32 v21, v21, v44
	ds_store_2addr_b32 v10, v16, v17 offset0:1 offset1:2
	ds_store_2addr_b32 v10, v18, v20 offset0:3 offset1:4
	ds_store_b16 v10, v48 offset:24
	ds_store_b128 v10, v[4:7] offset:26
	ds_store_b64 v10, v[8:9] offset:42
	ds_store_b16 v10, v21 offset:50
.LBB0_13:
	s_wait_alu 0xfffe
	s_or_b32 exec_lo, exec_lo, s1
	v_and_b32_e32 v11, 0xff, v0
	v_add_nc_u32_e32 v1, 0xc3, v0
	global_wb scope:SCOPE_SE
	s_wait_dscnt 0x0
	s_barrier_signal -1
	s_barrier_wait -1
	v_mul_lo_u16 v4, 0x4f, v11
	global_inv scope:SCOPE_SE
	v_lshl_add_u32 v6, v0, 2, 0
	v_mul_lo_u16 v11, 0xfd, v11
	v_cmp_gt_u32_e64 s0, 0x41, v0
	v_lshrrev_b16 v32, 10, v4
	v_and_b32_e32 v4, 0xffff, v1
	v_add_nc_u32_e32 v8, 0x1200, v6
	v_lshrrev_b16 v11, 14, v11
	v_add_nc_u32_e32 v7, 0x1800, v6
	v_mul_lo_u16 v5, v32, 13
	v_mul_u32_u24_e32 v4, 0x4ec5, v4
	ds_load_2addr_b32 v[9:10], v6 offset1:195
	v_mul_lo_u16 v36, 0x41, v11
	v_and_b32_e32 v32, 0xffff, v32
	v_sub_nc_u16 v5, v0, v5
	v_lshrrev_b32_e32 v33, 18, v4
	v_and_b32_e32 v11, 0xffff, v11
	v_sub_nc_u16 v36, v0, v36
	v_mul_u32_u24_e32 v32, 0x104, v32
	v_and_b32_e32 v34, 0xff, v5
	v_mul_lo_u16 v4, v33, 13
	v_mul_u32_u24_e32 v33, 0x104, v33
	v_and_b32_e32 v36, 0xff, v36
	v_mul_u32_u24_e32 v11, 0xa28, v11
	v_lshlrev_b32_e32 v5, 4, v34
	v_sub_nc_u16 v4, v1, v4
	v_lshlrev_b32_e32 v34, 2, v34
	v_mul_u32_u24_e32 v45, 9, v36
	global_load_b128 v[16:19], v5, s[4:5]
	v_and_b32_e32 v35, 0xffff, v4
	v_add3_u32 v32, 0, v32, v34
	v_lshlrev_b32_e32 v34, 2, v45
	s_wait_dscnt 0x0
	v_lshrrev_b32_e32 v37, 16, v9
	v_lshrrev_b32_e32 v38, 16, v10
	v_lshlrev_b32_e32 v4, 4, v35
	v_lshlrev_b32_e32 v35, 2, v35
	global_load_b128 v[20:23], v4, s[4:5]
	v_add_nc_u32_e32 v4, 0xc00, v6
	v_add_nc_u32_e32 v5, 0x600, v6
	v_add3_u32 v33, 0, v33, v35
	ds_load_2addr_b32 v[24:25], v4 offset0:12 offset1:207
	ds_load_2addr_b32 v[26:27], v8 offset0:18 offset1:213
	;; [unrolled: 1-line block ×4, first 2 shown]
	global_wb scope:SCOPE_SE
	s_wait_loadcnt_dscnt 0x0
	s_barrier_signal -1
	s_barrier_wait -1
	global_inv scope:SCOPE_SE
	v_lshrrev_b32_e32 v43, 16, v24
	v_lshrrev_b32_e32 v44, 16, v26
	;; [unrolled: 1-line block ×12, first 2 shown]
	s_delay_alu instid0(VALU_DEP_4)
	v_mul_f16_e32 v50, v45, v42
	v_mul_f16_e32 v45, v45, v30
	;; [unrolled: 1-line block ×8, first 2 shown]
	v_lshrrev_b32_e32 v54, 16, v20
	v_lshrrev_b32_e32 v55, 16, v21
	;; [unrolled: 1-line block ×4, first 2 shown]
	v_fmac_f16_e32 v50, v16, v30
	v_fma_f16 v16, v16, v42, -v45
	v_fmac_f16_e32 v51, v17, v24
	v_fma_f16 v17, v17, v43, -v35
	;; [unrolled: 2-line block ×4, first 2 shown]
	v_mul_f16_e32 v24, v54, v47
	v_mul_f16_e32 v26, v54, v31
	;; [unrolled: 1-line block ×8, first 2 shown]
	v_fmac_f16_e32 v24, v20, v31
	v_fma_f16 v20, v20, v47, -v26
	v_fmac_f16_e32 v28, v25, v21
	v_fma_f16 v21, v39, v21, -v30
	;; [unrolled: 2-line block ×4, first 2 shown]
	v_add_f16_e32 v25, v9, v50
	v_add_f16_e32 v26, v51, v52
	v_sub_f16_e32 v30, v50, v51
	v_sub_f16_e32 v31, v53, v52
	v_add_f16_e32 v39, v50, v53
	v_sub_f16_e32 v40, v51, v50
	v_sub_f16_e32 v41, v52, v53
	v_add_f16_e32 v42, v37, v16
	v_add_f16_e32 v44, v17, v18
	v_sub_f16_e32 v47, v16, v17
	v_sub_f16_e32 v48, v19, v18
	v_add_f16_e32 v49, v16, v19
	v_sub_f16_e32 v27, v16, v19
	v_sub_f16_e32 v45, v50, v53
	;; [unrolled: 1-line block ×5, first 2 shown]
	v_add_f16_e32 v25, v25, v51
	v_fma_f16 v26, -0.5, v26, v9
	v_add_f16_e32 v30, v30, v31
	v_fma_f16 v9, -0.5, v39, v9
	v_add_f16_e32 v31, v40, v41
	v_add_f16_e32 v17, v42, v17
	v_fma_f16 v39, -0.5, v44, v37
	v_add_f16_e32 v40, v47, v48
	v_fmac_f16_e32 v37, -0.5, v49
	v_add_f16_e32 v41, v10, v24
	v_add_f16_e32 v42, v28, v35
	v_sub_f16_e32 v48, v24, v28
	v_sub_f16_e32 v49, v43, v35
	v_add_f16_e32 v55, v38, v20
	v_add_f16_e32 v56, v21, v22
	;; [unrolled: 1-line block ×5, first 2 shown]
	v_sub_f16_e32 v46, v51, v52
	v_sub_f16_e32 v44, v20, v23
	;; [unrolled: 1-line block ×8, first 2 shown]
	v_add_f16_e32 v25, v25, v52
	v_fmamk_f16 v52, v27, 0xbb9c, v26
	v_fmamk_f16 v62, v29, 0x3b9c, v9
	v_fmac_f16_e32 v9, 0xbb9c, v29
	v_add_f16_e32 v17, v17, v18
	v_fmamk_f16 v18, v45, 0x3b9c, v39
	v_add_f16_e32 v28, v41, v28
	v_fma_f16 v41, -0.5, v42, v10
	v_add_f16_e32 v42, v48, v49
	v_add_f16_e32 v21, v55, v21
	v_fma_f16 v49, -0.5, v56, v38
	v_fmac_f16_e32 v26, 0x3b9c, v27
	v_fmac_f16_e32 v10, -0.5, v50
	v_fmac_f16_e32 v38, -0.5, v60
	v_fmamk_f16 v63, v46, 0xbb9c, v37
	v_fmac_f16_e32 v37, 0x3b9c, v46
	v_fmac_f16_e32 v39, 0xbb9c, v45
	v_sub_f16_e32 v59, v23, v22
	v_sub_f16_e32 v61, v22, v23
	v_fmac_f16_e32 v52, 0xb8b4, v29
	v_fmac_f16_e32 v62, 0xb8b4, v27
	;; [unrolled: 1-line block ×4, first 2 shown]
	v_fmamk_f16 v27, v44, 0xbb9c, v41
	v_add_f16_e32 v21, v21, v22
	v_fmamk_f16 v22, v24, 0x3b9c, v49
	v_sub_f16_e32 v54, v35, v43
	v_fmac_f16_e32 v26, 0x38b4, v29
	v_add_f16_e32 v17, v17, v19
	v_add_f16_e32 v19, v28, v35
	v_fmamk_f16 v28, v47, 0x3b9c, v10
	v_fmac_f16_e32 v10, 0xbb9c, v47
	v_fmamk_f16 v29, v57, 0xbb9c, v38
	v_fmac_f16_e32 v38, 0x3b9c, v57
	v_fmac_f16_e32 v41, 0x3b9c, v44
	;; [unrolled: 1-line block ×6, first 2 shown]
	v_add_f16_e32 v50, v58, v59
	v_add_f16_e32 v25, v25, v53
	v_fmac_f16_e32 v52, 0x34f2, v30
	v_fmac_f16_e32 v18, 0x34f2, v40
	v_fmac_f16_e32 v27, 0xb8b4, v47
	v_fmac_f16_e32 v22, 0x38b4, v57
	v_add_f16_e32 v48, v51, v54
	v_add_f16_e32 v20, v20, v61
	v_fmac_f16_e32 v28, 0xb8b4, v44
	v_fmac_f16_e32 v10, 0x38b4, v44
	;; [unrolled: 1-line block ×12, first 2 shown]
	v_add_f16_e32 v16, v19, v43
	v_add_f16_e32 v19, v21, v23
	v_pack_b32_f16 v17, v25, v17
	v_fmac_f16_e32 v27, 0x34f2, v42
	v_fmac_f16_e32 v22, 0x34f2, v50
	v_pack_b32_f16 v18, v52, v18
	v_fmac_f16_e32 v28, 0x34f2, v48
	v_fmac_f16_e32 v10, 0x34f2, v48
	;; [unrolled: 1-line block ×6, first 2 shown]
	v_pack_b32_f16 v20, v62, v63
	v_pack_b32_f16 v9, v9, v37
	;; [unrolled: 1-line block ×4, first 2 shown]
	ds_store_2addr_b32 v32, v17, v18 offset1:13
	v_pack_b32_f16 v17, v27, v22
	v_pack_b32_f16 v18, v28, v29
	;; [unrolled: 1-line block ×4, first 2 shown]
	ds_store_2addr_b32 v32, v20, v9 offset0:26 offset1:39
	ds_store_b32 v32, v21 offset:208
	ds_store_2addr_b32 v33, v16, v17 offset1:13
	ds_store_2addr_b32 v33, v18, v10 offset0:26 offset1:39
	ds_store_b32 v33, v19 offset:208
	global_wb scope:SCOPE_SE
	s_wait_dscnt 0x0
	s_barrier_signal -1
	s_barrier_wait -1
	global_inv scope:SCOPE_SE
	s_clause 0x2
	global_load_b128 v[16:19], v34, s[4:5] offset:208
	global_load_b128 v[20:23], v34, s[4:5] offset:224
	global_load_b32 v28, v34, s[4:5] offset:240
	ds_load_2addr_b32 v[9:10], v6 offset1:195
	ds_load_2addr_b32 v[24:25], v8 offset0:18 offset1:213
	ds_load_2addr_b32 v[7:8], v7 offset0:24 offset1:219
	;; [unrolled: 1-line block ×4, first 2 shown]
	v_lshlrev_b32_e32 v29, 2, v36
	v_add_nc_u32_e32 v30, 0x1400, v6
	global_wb scope:SCOPE_SE
	s_wait_loadcnt_dscnt 0x0
	s_barrier_signal -1
	s_barrier_wait -1
	v_add3_u32 v11, 0, v11, v29
	v_add_nc_u32_e32 v29, 0xa00, v6
	global_inv scope:SCOPE_SE
	v_add_nc_u32_e32 v31, 0x400, v11
	v_add_nc_u32_e32 v32, 0x800, v11
	v_lshrrev_b32_e32 v38, 16, v10
	v_lshrrev_b32_e32 v34, 16, v24
	;; [unrolled: 1-line block ×19, first 2 shown]
	v_mul_f16_e32 v52, v43, v38
	v_mul_f16_e32 v43, v43, v10
	;; [unrolled: 1-line block ×18, first 2 shown]
	v_fmac_f16_e32 v52, v16, v10
	v_fma_f16 v10, v16, v38, -v43
	v_fmac_f16_e32 v53, v17, v26
	v_fma_f16 v16, v17, v39, -v44
	;; [unrolled: 2-line block ×6, first 2 shown]
	v_fma_f16 v19, v35, v22, -v49
	v_fmac_f16_e32 v59, v7, v23
	v_fma_f16 v7, v36, v23, -v50
	v_fmac_f16_e32 v60, v8, v28
	;; [unrolled: 2-line block ×3, first 2 shown]
	v_add_f16_e32 v20, v9, v53
	v_sub_f16_e32 v24, v53, v55
	v_sub_f16_e32 v25, v59, v57
	v_add_f16_e32 v26, v53, v59
	v_sub_f16_e32 v27, v55, v53
	v_sub_f16_e32 v28, v57, v59
	;; [unrolled: 1-line block ×5, first 2 shown]
	v_add_f16_e32 v51, v10, v17
	v_add_f16_e32 v53, v5, v19
	;; [unrolled: 1-line block ×9, first 2 shown]
	v_sub_f16_e32 v44, v17, v8
	v_sub_f16_e32 v45, v5, v19
	;; [unrolled: 1-line block ×3, first 2 shown]
	v_add_f16_e32 v48, v54, v60
	v_sub_f16_e32 v49, v56, v54
	v_sub_f16_e32 v54, v54, v60
	;; [unrolled: 1-line block ×4, first 2 shown]
	v_add_f16_e32 v24, v24, v25
	v_add_f16_e32 v25, v27, v28
	;; [unrolled: 1-line block ×4, first 2 shown]
	v_fma_f16 v39, -0.5, v53, v10
	v_sub_f16_e32 v61, v56, v58
	v_fmac_f16_e32 v10, -0.5, v64
	v_sub_f16_e32 v22, v16, v7
	v_sub_f16_e32 v23, v4, v18
	;; [unrolled: 1-line block ×7, first 2 shown]
	v_fma_f16 v21, -0.5, v21, v9
	v_fmac_f16_e32 v9, -0.5, v26
	v_add_f16_e32 v4, v34, v4
	v_fma_f16 v26, -0.5, v35, v33
	v_fmac_f16_e32 v33, -0.5, v40
	v_fma_f16 v34, -0.5, v43, v52
	v_add_f16_e32 v5, v5, v19
	v_fmamk_f16 v19, v54, 0x3b9c, v39
	v_add_f16_e32 v20, v20, v55
	v_add_f16_e32 v28, v42, v56
	v_fmac_f16_e32 v52, -0.5, v48
	v_fmamk_f16 v48, v61, 0xbb9c, v10
	v_fmac_f16_e32 v10, 0x3b9c, v61
	v_sub_f16_e32 v41, v18, v7
	v_fmac_f16_e32 v39, 0xbb9c, v54
	v_add_f16_e32 v35, v46, v47
	v_add_f16_e32 v40, v62, v63
	v_add_f16_e32 v4, v4, v18
	v_fmamk_f16 v43, v37, 0xbb9c, v33
	v_fmac_f16_e32 v33, 0x3b9c, v37
	v_fmamk_f16 v46, v44, 0xbb9c, v34
	v_fmac_f16_e32 v19, 0x38b4, v61
	v_sub_f16_e32 v50, v58, v60
	v_add_f16_e32 v17, v17, v65
	v_add_f16_e32 v20, v20, v57
	;; [unrolled: 1-line block ×3, first 2 shown]
	v_fmamk_f16 v47, v45, 0x3b9c, v52
	v_fmac_f16_e32 v52, 0xbb9c, v45
	v_fmac_f16_e32 v48, 0x38b4, v54
	;; [unrolled: 1-line block ×3, first 2 shown]
	v_add_f16_e32 v16, v16, v41
	v_fmamk_f16 v41, v22, 0xbb9c, v21
	v_fmac_f16_e32 v21, 0x3b9c, v22
	v_fmac_f16_e32 v34, 0x3b9c, v44
	;; [unrolled: 1-line block ×3, first 2 shown]
	v_fmamk_f16 v18, v36, 0x3b9c, v26
	v_add_f16_e32 v4, v4, v7
	v_fmac_f16_e32 v43, 0x38b4, v36
	v_fmac_f16_e32 v33, 0xb8b4, v36
	;; [unrolled: 1-line block ×3, first 2 shown]
	v_add_f16_e32 v5, v5, v8
	v_fmac_f16_e32 v19, 0x34f2, v40
	v_add_f16_e32 v38, v49, v50
	v_fmamk_f16 v42, v23, 0x3b9c, v9
	v_fmac_f16_e32 v9, 0xbb9c, v23
	v_add_f16_e32 v20, v20, v59
	v_add_f16_e32 v7, v28, v60
	v_fmac_f16_e32 v47, 0xb8b4, v44
	v_fmac_f16_e32 v52, 0x38b4, v44
	;; [unrolled: 1-line block ×13, first 2 shown]
	v_add_f16_e32 v16, v4, v5
	v_sub_f16_e32 v4, v4, v5
	v_mul_f16_e32 v5, 0xb8b4, v19
	v_mul_f16_e32 v19, 0x3a79, v19
	v_fmac_f16_e32 v42, 0xb8b4, v22
	v_fmac_f16_e32 v9, 0x38b4, v22
	;; [unrolled: 1-line block ×4, first 2 shown]
	v_add_f16_e32 v8, v20, v7
	v_sub_f16_e32 v7, v20, v7
	v_mul_f16_e32 v17, 0xbb9c, v48
	v_mul_f16_e32 v20, 0xbb9c, v10
	v_mul_f16_e32 v23, 0x34f2, v48
	v_mul_f16_e32 v10, 0xb4f2, v10
	v_fmac_f16_e32 v26, 0xb8b4, v37
	v_fmac_f16_e32 v41, 0x34f2, v24
	;; [unrolled: 1-line block ×4, first 2 shown]
	v_mul_f16_e32 v22, 0xb8b4, v39
	v_mul_f16_e32 v24, 0xba79, v39
	v_fmac_f16_e32 v18, 0x34f2, v27
	v_fmac_f16_e32 v5, 0x3a79, v46
	;; [unrolled: 1-line block ×12, first 2 shown]
	v_pack_b32_f16 v4, v7, v4
	v_add_f16_e32 v7, v41, v5
	v_add_f16_e32 v34, v18, v19
	;; [unrolled: 1-line block ×8, first 2 shown]
	v_sub_f16_e32 v5, v41, v5
	v_sub_f16_e32 v38, v42, v17
	;; [unrolled: 1-line block ×4, first 2 shown]
	v_pack_b32_f16 v8, v8, v16
	v_sub_f16_e32 v9, v9, v20
	v_sub_f16_e32 v16, v21, v22
	;; [unrolled: 1-line block ×4, first 2 shown]
	v_pack_b32_f16 v7, v7, v34
	v_pack_b32_f16 v20, v25, v35
	;; [unrolled: 1-line block ×8, first 2 shown]
	ds_store_2addr_b32 v11, v8, v7 offset1:65
	ds_store_2addr_b32 v11, v20, v21 offset0:130 offset1:195
	ds_store_2addr_b32 v31, v22, v4 offset0:4 offset1:69
	;; [unrolled: 1-line block ×4, first 2 shown]
	global_wb scope:SCOPE_SE
	s_wait_dscnt 0x0
	s_barrier_signal -1
	s_barrier_wait -1
	global_inv scope:SCOPE_SE
	ds_load_2addr_b32 v[4:5], v6 offset1:195
	ds_load_2addr_b32 v[8:9], v29 offset0:10 offset1:205
	ds_load_2addr_b32 v[10:11], v30 offset0:20 offset1:215
	ds_load_b32 v18, v6 offset:1560
	ds_load_b32 v19, v6 offset:4160
	ds_load_b32 v20, v6 offset:6760
	s_and_saveexec_b32 s1, s0
	s_cbranch_execz .LBB0_15
; %bb.14:
	ds_load_b32 v16, v6 offset:2340
	ds_load_b32 v12, v6 offset:7540
	;; [unrolled: 1-line block ×3, first 2 shown]
	s_wait_dscnt 0x2
	v_lshrrev_b32_e32 v17, 16, v16
	s_wait_dscnt 0x1
	v_lshrrev_b32_e32 v13, 16, v12
	s_wait_dscnt 0x0
	v_lshrrev_b32_e32 v15, 16, v14
.LBB0_15:
	s_wait_alu 0xfffe
	s_or_b32 exec_lo, exec_lo, s1
	s_and_saveexec_b32 s1, vcc_lo
	s_cbranch_execz .LBB0_18
; %bb.16:
	v_add_nc_u32_e32 v27, 0x186, v0
	v_mov_b32_e32 v7, 0
	s_wait_dscnt 0x0
	v_lshrrev_b32_e32 v34, 16, v20
	v_lshrrev_b32_e32 v35, 16, v19
	;; [unrolled: 1-line block ×3, first 2 shown]
	v_lshlrev_b32_e32 v6, 1, v27
	v_lshrrev_b32_e32 v37, 16, v11
	v_lshrrev_b32_e32 v38, 16, v8
	;; [unrolled: 1-line block ×4, first 2 shown]
	v_lshlrev_b64_e32 v[21:22], 2, v[6:7]
	v_dual_mov_b32 v1, v7 :: v_dual_lshlrev_b32 v6, 1, v1
	v_lshrrev_b32_e32 v33, 16, v18
	v_lshrrev_b32_e32 v31, 16, v4
	s_delay_alu instid0(VALU_DEP_3) | instskip(SKIP_4) | instid1(VALU_DEP_3)
	v_lshlrev_b64_e32 v[23:24], 2, v[6:7]
	v_lshlrev_b32_e32 v6, 1, v0
	v_add_co_u32 v21, vcc_lo, s4, v21
	s_wait_alu 0xfffd
	v_add_co_ci_u32_e32 v22, vcc_lo, s5, v22, vcc_lo
	v_lshlrev_b64_e32 v[25:26], 2, v[6:7]
	v_add_co_u32 v23, vcc_lo, s4, v23
	global_load_b64 v[21:22], v[21:22], off offset:2548
	s_wait_alu 0xfffd
	v_add_co_ci_u32_e32 v24, vcc_lo, s5, v24, vcc_lo
	v_add_co_u32 v25, vcc_lo, s4, v25
	s_wait_alu 0xfffd
	v_add_co_ci_u32_e32 v26, vcc_lo, s5, v26, vcc_lo
	global_load_b64 v[23:24], v[23:24], off offset:2548
	v_mul_hi_u32 v6, 0xc9a633fd, v27
	v_lshlrev_b64_e32 v[27:28], 2, v[0:1]
	global_load_b64 v[25:26], v[25:26], off offset:2548
	v_add_co_u32 v1, vcc_lo, s8, v2
	s_wait_alu 0xfffd
	v_add_co_ci_u32_e32 v2, vcc_lo, s9, v3, vcc_lo
	v_lshrrev_b32_e32 v6, 9, v6
	s_delay_alu instid0(VALU_DEP_3) | instskip(SKIP_1) | instid1(VALU_DEP_3)
	v_add_co_u32 v1, vcc_lo, v1, v27
	s_wait_alu 0xfffd
	v_add_co_ci_u32_e32 v2, vcc_lo, v2, v28, vcc_lo
	s_delay_alu instid0(VALU_DEP_3) | instskip(NEXT) | instid1(VALU_DEP_1)
	v_mul_u32_u24_e32 v6, 0x514, v6
	v_lshlrev_b64_e32 v[29:30], 2, v[6:7]
	s_delay_alu instid0(VALU_DEP_1) | instskip(SKIP_1) | instid1(VALU_DEP_2)
	v_add_co_u32 v27, vcc_lo, v1, v29
	s_wait_alu 0xfffd
	v_add_co_ci_u32_e32 v28, vcc_lo, v2, v30, vcc_lo
	s_wait_loadcnt 0x2
	v_lshrrev_b32_e32 v3, 16, v21
	v_lshrrev_b32_e32 v6, 16, v22
	s_delay_alu instid0(VALU_DEP_2) | instskip(NEXT) | instid1(VALU_DEP_2)
	v_mul_f16_e32 v30, v3, v19
	v_mul_f16_e32 v29, v6, v20
	;; [unrolled: 1-line block ×4, first 2 shown]
	s_wait_loadcnt 0x1
	v_lshrrev_b32_e32 v40, 16, v23
	v_lshrrev_b32_e32 v41, 16, v24
	v_fma_f16 v29, v22, v34, -v29
	v_fma_f16 v30, v21, v35, -v30
	v_fmac_f16_e32 v3, v21, v19
	v_fmac_f16_e32 v6, v22, v20
	v_mul_f16_e32 v19, v40, v9
	v_mul_f16_e32 v20, v41, v11
	v_mul_f16_e32 v21, v40, v36
	v_mul_f16_e32 v22, v41, v37
	s_wait_loadcnt 0x0
	v_lshrrev_b32_e32 v34, 16, v25
	v_lshrrev_b32_e32 v35, 16, v26
	v_add_f16_e32 v41, v18, v3
	v_sub_f16_e32 v43, v3, v6
	v_add_f16_e32 v3, v6, v3
	v_fma_f16 v19, v23, v36, -v19
	v_fma_f16 v20, v24, v37, -v20
	v_fmac_f16_e32 v21, v23, v9
	v_fmac_f16_e32 v22, v24, v11
	v_mul_f16_e32 v9, v34, v8
	v_mul_f16_e32 v11, v35, v10
	;; [unrolled: 1-line block ×4, first 2 shown]
	v_fmac_f16_e32 v18, -0.5, v3
	v_add_f16_e32 v3, v19, v20
	v_sub_f16_e32 v34, v21, v22
	v_add_f16_e32 v35, v21, v22
	v_sub_f16_e32 v36, v19, v20
	v_add_f16_e32 v19, v32, v19
	v_add_f16_e32 v21, v5, v21
	v_fma_f16 v9, v25, v38, -v9
	v_fma_f16 v11, v26, v39, -v11
	v_fmac_f16_e32 v23, v25, v8
	v_fmac_f16_e32 v24, v26, v10
	v_add_f16_e32 v19, v19, v20
	v_add_f16_e32 v20, v21, v22
	;; [unrolled: 1-line block ×6, first 2 shown]
	v_sub_f16_e32 v22, v23, v24
	v_sub_f16_e32 v26, v9, v11
	v_add_f16_e32 v9, v31, v9
	v_add_f16_e32 v23, v4, v23
	v_fma_f16 v21, -0.5, v21, v31
	v_fma_f16 v4, -0.5, v25, v4
	v_sub_f16_e32 v30, v30, v29
	v_add_f16_e32 v29, v29, v40
	v_add_f16_e32 v6, v6, v41
	v_fma_f16 v3, -0.5, v3, v32
	v_fma_f16 v5, -0.5, v35, v5
	v_fmac_f16_e32 v33, -0.5, v42
	v_add_f16_e32 v9, v9, v11
	v_add_f16_e32 v11, v23, v24
	v_fmamk_f16 v23, v22, 0xbaee, v21
	v_fmamk_f16 v24, v26, 0x3aee, v4
	v_fmac_f16_e32 v21, 0x3aee, v22
	v_fmac_f16_e32 v4, 0xbaee, v26
	v_fmamk_f16 v10, v30, 0x3aee, v18
	v_fmac_f16_e32 v18, 0xbaee, v30
	v_pack_b32_f16 v6, v6, v29
	v_fmamk_f16 v29, v34, 0xbaee, v3
	v_fmamk_f16 v30, v36, 0x3aee, v5
	v_fmac_f16_e32 v3, 0x3aee, v34
	v_fmac_f16_e32 v5, 0xbaee, v36
	v_fmamk_f16 v8, v43, 0xbaee, v33
	v_fmac_f16_e32 v33, 0x3aee, v43
	v_pack_b32_f16 v9, v11, v9
	v_pack_b32_f16 v4, v4, v21
	;; [unrolled: 1-line block ×8, first 2 shown]
	s_clause 0x8
	global_store_b32 v[1:2], v9, off
	global_store_b32 v[1:2], v4, off offset:2600
	global_store_b32 v[1:2], v19, off offset:780
	global_store_b32 v[1:2], v3, off offset:3380
	global_store_b32 v[1:2], v10, off offset:5200
	global_store_b32 v[1:2], v5, off offset:5980
	global_store_b32 v[27:28], v6, off offset:1560
	global_store_b32 v[27:28], v18, off offset:4160
	global_store_b32 v[27:28], v8, off offset:6760
	s_and_b32 exec_lo, exec_lo, s0
	s_cbranch_execz .LBB0_18
; %bb.17:
	v_mov_b32_e32 v3, 0x249
	s_delay_alu instid0(VALU_DEP_1) | instskip(NEXT) | instid1(VALU_DEP_1)
	v_cndmask_b32_e64 v3, 0xffffffbf, v3, s0
	v_add_lshl_u32 v6, v0, v3, 1
	s_delay_alu instid0(VALU_DEP_1) | instskip(NEXT) | instid1(VALU_DEP_1)
	v_lshlrev_b64_e32 v[3:4], 2, v[6:7]
	v_add_co_u32 v3, vcc_lo, s4, v3
	s_wait_alu 0xfffd
	s_delay_alu instid0(VALU_DEP_2) | instskip(SKIP_4) | instid1(VALU_DEP_2)
	v_add_co_ci_u32_e32 v4, vcc_lo, s5, v4, vcc_lo
	global_load_b64 v[3:4], v[3:4], off offset:2548
	s_wait_loadcnt 0x0
	v_lshrrev_b32_e32 v0, 16, v3
	v_lshrrev_b32_e32 v5, 16, v4
	v_mul_f16_e32 v6, v15, v0
	s_delay_alu instid0(VALU_DEP_2) | instskip(SKIP_2) | instid1(VALU_DEP_4)
	v_mul_f16_e32 v7, v13, v5
	v_mul_f16_e32 v0, v14, v0
	;; [unrolled: 1-line block ×3, first 2 shown]
	v_fmac_f16_e32 v6, v14, v3
	s_delay_alu instid0(VALU_DEP_4) | instskip(NEXT) | instid1(VALU_DEP_4)
	v_fmac_f16_e32 v7, v12, v4
	v_fma_f16 v0, v15, v3, -v0
	s_delay_alu instid0(VALU_DEP_4) | instskip(NEXT) | instid1(VALU_DEP_4)
	v_fma_f16 v3, v13, v4, -v5
	v_add_f16_e32 v5, v16, v6
	s_delay_alu instid0(VALU_DEP_4) | instskip(NEXT) | instid1(VALU_DEP_3)
	v_add_f16_e32 v4, v6, v7
	v_add_f16_e32 v8, v0, v3
	v_sub_f16_e32 v9, v0, v3
	v_add_f16_e32 v0, v17, v0
	s_delay_alu instid0(VALU_DEP_4)
	v_fmac_f16_e32 v16, -0.5, v4
	v_sub_f16_e32 v4, v6, v7
	v_fmac_f16_e32 v17, -0.5, v8
	v_add_f16_e32 v5, v5, v7
	v_add_f16_e32 v0, v0, v3
	v_fmamk_f16 v3, v9, 0xbaee, v16
	v_fmac_f16_e32 v16, 0x3aee, v9
	v_fmamk_f16 v6, v4, 0x3aee, v17
	v_fmac_f16_e32 v17, 0xbaee, v4
	v_pack_b32_f16 v0, v5, v0
	s_delay_alu instid0(VALU_DEP_3) | instskip(NEXT) | instid1(VALU_DEP_3)
	v_pack_b32_f16 v3, v3, v6
	v_pack_b32_f16 v4, v16, v17
	s_clause 0x2
	global_store_b32 v[1:2], v0, off offset:2340
	global_store_b32 v[1:2], v3, off offset:4940
	;; [unrolled: 1-line block ×3, first 2 shown]
.LBB0_18:
	s_nop 0
	s_sendmsg sendmsg(MSG_DEALLOC_VGPRS)
	s_endpgm
	.section	.rodata,"a",@progbits
	.p2align	6, 0x0
	.amdhsa_kernel fft_rtc_back_len1950_factors_13_5_10_3_wgs_195_tpt_195_half_ip_CI_unitstride_sbrr_dirReg
		.amdhsa_group_segment_fixed_size 0
		.amdhsa_private_segment_fixed_size 0
		.amdhsa_kernarg_size 88
		.amdhsa_user_sgpr_count 2
		.amdhsa_user_sgpr_dispatch_ptr 0
		.amdhsa_user_sgpr_queue_ptr 0
		.amdhsa_user_sgpr_kernarg_segment_ptr 1
		.amdhsa_user_sgpr_dispatch_id 0
		.amdhsa_user_sgpr_private_segment_size 0
		.amdhsa_wavefront_size32 1
		.amdhsa_uses_dynamic_stack 0
		.amdhsa_enable_private_segment 0
		.amdhsa_system_sgpr_workgroup_id_x 1
		.amdhsa_system_sgpr_workgroup_id_y 0
		.amdhsa_system_sgpr_workgroup_id_z 0
		.amdhsa_system_sgpr_workgroup_info 0
		.amdhsa_system_vgpr_workitem_id 0
		.amdhsa_next_free_vgpr 102
		.amdhsa_next_free_sgpr 32
		.amdhsa_reserve_vcc 1
		.amdhsa_float_round_mode_32 0
		.amdhsa_float_round_mode_16_64 0
		.amdhsa_float_denorm_mode_32 3
		.amdhsa_float_denorm_mode_16_64 3
		.amdhsa_fp16_overflow 0
		.amdhsa_workgroup_processor_mode 1
		.amdhsa_memory_ordered 1
		.amdhsa_forward_progress 0
		.amdhsa_round_robin_scheduling 0
		.amdhsa_exception_fp_ieee_invalid_op 0
		.amdhsa_exception_fp_denorm_src 0
		.amdhsa_exception_fp_ieee_div_zero 0
		.amdhsa_exception_fp_ieee_overflow 0
		.amdhsa_exception_fp_ieee_underflow 0
		.amdhsa_exception_fp_ieee_inexact 0
		.amdhsa_exception_int_div_zero 0
	.end_amdhsa_kernel
	.text
.Lfunc_end0:
	.size	fft_rtc_back_len1950_factors_13_5_10_3_wgs_195_tpt_195_half_ip_CI_unitstride_sbrr_dirReg, .Lfunc_end0-fft_rtc_back_len1950_factors_13_5_10_3_wgs_195_tpt_195_half_ip_CI_unitstride_sbrr_dirReg
                                        ; -- End function
	.section	.AMDGPU.csdata,"",@progbits
; Kernel info:
; codeLenInByte = 9032
; NumSgprs: 34
; NumVgprs: 102
; ScratchSize: 0
; MemoryBound: 0
; FloatMode: 240
; IeeeMode: 1
; LDSByteSize: 0 bytes/workgroup (compile time only)
; SGPRBlocks: 4
; VGPRBlocks: 12
; NumSGPRsForWavesPerEU: 34
; NumVGPRsForWavesPerEU: 102
; Occupancy: 12
; WaveLimiterHint : 1
; COMPUTE_PGM_RSRC2:SCRATCH_EN: 0
; COMPUTE_PGM_RSRC2:USER_SGPR: 2
; COMPUTE_PGM_RSRC2:TRAP_HANDLER: 0
; COMPUTE_PGM_RSRC2:TGID_X_EN: 1
; COMPUTE_PGM_RSRC2:TGID_Y_EN: 0
; COMPUTE_PGM_RSRC2:TGID_Z_EN: 0
; COMPUTE_PGM_RSRC2:TIDIG_COMP_CNT: 0
	.text
	.p2alignl 7, 3214868480
	.fill 96, 4, 3214868480
	.type	__hip_cuid_fa9fef0fae3bf423,@object ; @__hip_cuid_fa9fef0fae3bf423
	.section	.bss,"aw",@nobits
	.globl	__hip_cuid_fa9fef0fae3bf423
__hip_cuid_fa9fef0fae3bf423:
	.byte	0                               ; 0x0
	.size	__hip_cuid_fa9fef0fae3bf423, 1

	.ident	"AMD clang version 19.0.0git (https://github.com/RadeonOpenCompute/llvm-project roc-6.4.0 25133 c7fe45cf4b819c5991fe208aaa96edf142730f1d)"
	.section	".note.GNU-stack","",@progbits
	.addrsig
	.addrsig_sym __hip_cuid_fa9fef0fae3bf423
	.amdgpu_metadata
---
amdhsa.kernels:
  - .args:
      - .actual_access:  read_only
        .address_space:  global
        .offset:         0
        .size:           8
        .value_kind:     global_buffer
      - .offset:         8
        .size:           8
        .value_kind:     by_value
      - .actual_access:  read_only
        .address_space:  global
        .offset:         16
        .size:           8
        .value_kind:     global_buffer
      - .actual_access:  read_only
        .address_space:  global
        .offset:         24
        .size:           8
        .value_kind:     global_buffer
      - .offset:         32
        .size:           8
        .value_kind:     by_value
      - .actual_access:  read_only
        .address_space:  global
        .offset:         40
        .size:           8
        .value_kind:     global_buffer
      - .actual_access:  read_only
        .address_space:  global
        .offset:         48
        .size:           8
        .value_kind:     global_buffer
      - .offset:         56
        .size:           4
        .value_kind:     by_value
      - .actual_access:  read_only
        .address_space:  global
        .offset:         64
        .size:           8
        .value_kind:     global_buffer
      - .actual_access:  read_only
        .address_space:  global
        .offset:         72
        .size:           8
        .value_kind:     global_buffer
      - .address_space:  global
        .offset:         80
        .size:           8
        .value_kind:     global_buffer
    .group_segment_fixed_size: 0
    .kernarg_segment_align: 8
    .kernarg_segment_size: 88
    .language:       OpenCL C
    .language_version:
      - 2
      - 0
    .max_flat_workgroup_size: 195
    .name:           fft_rtc_back_len1950_factors_13_5_10_3_wgs_195_tpt_195_half_ip_CI_unitstride_sbrr_dirReg
    .private_segment_fixed_size: 0
    .sgpr_count:     34
    .sgpr_spill_count: 0
    .symbol:         fft_rtc_back_len1950_factors_13_5_10_3_wgs_195_tpt_195_half_ip_CI_unitstride_sbrr_dirReg.kd
    .uniform_work_group_size: 1
    .uses_dynamic_stack: false
    .vgpr_count:     102
    .vgpr_spill_count: 0
    .wavefront_size: 32
    .workgroup_processor_mode: 1
amdhsa.target:   amdgcn-amd-amdhsa--gfx1201
amdhsa.version:
  - 1
  - 2
...

	.end_amdgpu_metadata
